;; amdgpu-corpus repo=ROCm/rocFFT kind=compiled arch=gfx906 opt=O3
	.text
	.amdgcn_target "amdgcn-amd-amdhsa--gfx906"
	.amdhsa_code_object_version 6
	.protected	fft_rtc_back_len588_factors_7_3_4_7_wgs_252_tpt_84_dp_ip_CI_unitstride_sbrr_dirReg ; -- Begin function fft_rtc_back_len588_factors_7_3_4_7_wgs_252_tpt_84_dp_ip_CI_unitstride_sbrr_dirReg
	.globl	fft_rtc_back_len588_factors_7_3_4_7_wgs_252_tpt_84_dp_ip_CI_unitstride_sbrr_dirReg
	.p2align	8
	.type	fft_rtc_back_len588_factors_7_3_4_7_wgs_252_tpt_84_dp_ip_CI_unitstride_sbrr_dirReg,@function
fft_rtc_back_len588_factors_7_3_4_7_wgs_252_tpt_84_dp_ip_CI_unitstride_sbrr_dirReg: ; @fft_rtc_back_len588_factors_7_3_4_7_wgs_252_tpt_84_dp_ip_CI_unitstride_sbrr_dirReg
; %bb.0:
	s_load_dwordx2 s[2:3], s[4:5], 0x50
	s_load_dwordx4 s[8:11], s[4:5], 0x0
	s_load_dwordx2 s[12:13], s[4:5], 0x18
	v_mul_u32_u24_e32 v1, 0x30d, v0
	v_lshrrev_b32_e32 v1, 16, v1
	v_mad_u64_u32 v[1:2], s[0:1], s6, 3, v[1:2]
	v_mov_b32_e32 v5, 0
	s_waitcnt lgkmcnt(0)
	v_cmp_lt_u64_e64 s[0:1], s[10:11], 2
	v_mov_b32_e32 v2, v5
	v_mov_b32_e32 v3, 0
	;; [unrolled: 1-line block ×3, first 2 shown]
	s_and_b64 vcc, exec, s[0:1]
	v_mov_b32_e32 v4, 0
	v_mov_b32_e32 v9, v1
	s_cbranch_vccnz .LBB0_8
; %bb.1:
	s_load_dwordx2 s[0:1], s[4:5], 0x10
	s_add_u32 s6, s12, 8
	s_addc_u32 s7, s13, 0
	v_mov_b32_e32 v3, 0
	v_mov_b32_e32 v8, v2
	s_waitcnt lgkmcnt(0)
	s_add_u32 s16, s0, 8
	s_mov_b64 s[14:15], 1
	v_mov_b32_e32 v4, 0
	s_addc_u32 s17, s1, 0
	v_mov_b32_e32 v7, v1
.LBB0_2:                                ; =>This Inner Loop Header: Depth=1
	s_load_dwordx2 s[18:19], s[16:17], 0x0
                                        ; implicit-def: $vgpr9_vgpr10
	s_waitcnt lgkmcnt(0)
	v_or_b32_e32 v6, s19, v8
	v_cmp_ne_u64_e32 vcc, 0, v[5:6]
	s_and_saveexec_b64 s[0:1], vcc
	s_xor_b64 s[20:21], exec, s[0:1]
	s_cbranch_execz .LBB0_4
; %bb.3:                                ;   in Loop: Header=BB0_2 Depth=1
	v_cvt_f32_u32_e32 v2, s18
	v_cvt_f32_u32_e32 v6, s19
	s_sub_u32 s0, 0, s18
	s_subb_u32 s1, 0, s19
	v_mac_f32_e32 v2, 0x4f800000, v6
	v_rcp_f32_e32 v2, v2
	v_mul_f32_e32 v2, 0x5f7ffffc, v2
	v_mul_f32_e32 v6, 0x2f800000, v2
	v_trunc_f32_e32 v6, v6
	v_mac_f32_e32 v2, 0xcf800000, v6
	v_cvt_u32_f32_e32 v6, v6
	v_cvt_u32_f32_e32 v2, v2
	v_mul_lo_u32 v9, s0, v6
	v_mul_hi_u32 v10, s0, v2
	v_mul_lo_u32 v12, s1, v2
	v_mul_lo_u32 v11, s0, v2
	v_add_u32_e32 v9, v10, v9
	v_add_u32_e32 v9, v9, v12
	v_mul_hi_u32 v10, v2, v11
	v_mul_lo_u32 v12, v2, v9
	v_mul_hi_u32 v14, v2, v9
	v_mul_hi_u32 v13, v6, v11
	v_mul_lo_u32 v11, v6, v11
	v_mul_hi_u32 v15, v6, v9
	v_add_co_u32_e32 v10, vcc, v10, v12
	v_addc_co_u32_e32 v12, vcc, 0, v14, vcc
	v_mul_lo_u32 v9, v6, v9
	v_add_co_u32_e32 v10, vcc, v10, v11
	v_addc_co_u32_e32 v10, vcc, v12, v13, vcc
	v_addc_co_u32_e32 v11, vcc, 0, v15, vcc
	v_add_co_u32_e32 v9, vcc, v10, v9
	v_addc_co_u32_e32 v10, vcc, 0, v11, vcc
	v_add_co_u32_e32 v2, vcc, v2, v9
	v_addc_co_u32_e32 v6, vcc, v6, v10, vcc
	v_mul_lo_u32 v9, s0, v6
	v_mul_hi_u32 v10, s0, v2
	v_mul_lo_u32 v11, s1, v2
	v_mul_lo_u32 v12, s0, v2
	v_add_u32_e32 v9, v10, v9
	v_add_u32_e32 v9, v9, v11
	v_mul_lo_u32 v13, v2, v9
	v_mul_hi_u32 v14, v2, v12
	v_mul_hi_u32 v15, v2, v9
	;; [unrolled: 1-line block ×3, first 2 shown]
	v_mul_lo_u32 v12, v6, v12
	v_mul_hi_u32 v10, v6, v9
	v_add_co_u32_e32 v13, vcc, v14, v13
	v_addc_co_u32_e32 v14, vcc, 0, v15, vcc
	v_mul_lo_u32 v9, v6, v9
	v_add_co_u32_e32 v12, vcc, v13, v12
	v_addc_co_u32_e32 v11, vcc, v14, v11, vcc
	v_addc_co_u32_e32 v10, vcc, 0, v10, vcc
	v_add_co_u32_e32 v9, vcc, v11, v9
	v_addc_co_u32_e32 v10, vcc, 0, v10, vcc
	v_add_co_u32_e32 v2, vcc, v2, v9
	v_addc_co_u32_e32 v6, vcc, v6, v10, vcc
	v_mad_u64_u32 v[9:10], s[0:1], v7, v6, 0
	v_mul_hi_u32 v11, v7, v2
	v_add_co_u32_e32 v13, vcc, v11, v9
	v_addc_co_u32_e32 v14, vcc, 0, v10, vcc
	v_mad_u64_u32 v[9:10], s[0:1], v8, v2, 0
	v_mad_u64_u32 v[11:12], s[0:1], v8, v6, 0
	v_add_co_u32_e32 v2, vcc, v13, v9
	v_addc_co_u32_e32 v2, vcc, v14, v10, vcc
	v_addc_co_u32_e32 v6, vcc, 0, v12, vcc
	v_add_co_u32_e32 v2, vcc, v2, v11
	v_addc_co_u32_e32 v6, vcc, 0, v6, vcc
	v_mul_lo_u32 v11, s19, v2
	v_mul_lo_u32 v12, s18, v6
	v_mad_u64_u32 v[9:10], s[0:1], s18, v2, 0
	v_add3_u32 v10, v10, v12, v11
	v_sub_u32_e32 v11, v8, v10
	v_mov_b32_e32 v12, s19
	v_sub_co_u32_e32 v9, vcc, v7, v9
	v_subb_co_u32_e64 v11, s[0:1], v11, v12, vcc
	v_subrev_co_u32_e64 v12, s[0:1], s18, v9
	v_subbrev_co_u32_e64 v11, s[0:1], 0, v11, s[0:1]
	v_cmp_le_u32_e64 s[0:1], s19, v11
	v_cndmask_b32_e64 v13, 0, -1, s[0:1]
	v_cmp_le_u32_e64 s[0:1], s18, v12
	v_cndmask_b32_e64 v12, 0, -1, s[0:1]
	v_cmp_eq_u32_e64 s[0:1], s19, v11
	v_cndmask_b32_e64 v11, v13, v12, s[0:1]
	v_add_co_u32_e64 v12, s[0:1], 2, v2
	v_addc_co_u32_e64 v13, s[0:1], 0, v6, s[0:1]
	v_add_co_u32_e64 v14, s[0:1], 1, v2
	v_addc_co_u32_e64 v15, s[0:1], 0, v6, s[0:1]
	v_subb_co_u32_e32 v10, vcc, v8, v10, vcc
	v_cmp_ne_u32_e64 s[0:1], 0, v11
	v_cmp_le_u32_e32 vcc, s19, v10
	v_cndmask_b32_e64 v11, v15, v13, s[0:1]
	v_cndmask_b32_e64 v13, 0, -1, vcc
	v_cmp_le_u32_e32 vcc, s18, v9
	v_cndmask_b32_e64 v9, 0, -1, vcc
	v_cmp_eq_u32_e32 vcc, s19, v10
	v_cndmask_b32_e32 v9, v13, v9, vcc
	v_cmp_ne_u32_e32 vcc, 0, v9
	v_cndmask_b32_e32 v10, v6, v11, vcc
	v_cndmask_b32_e64 v6, v14, v12, s[0:1]
	v_cndmask_b32_e32 v9, v2, v6, vcc
.LBB0_4:                                ;   in Loop: Header=BB0_2 Depth=1
	s_andn2_saveexec_b64 s[0:1], s[20:21]
	s_cbranch_execz .LBB0_6
; %bb.5:                                ;   in Loop: Header=BB0_2 Depth=1
	v_cvt_f32_u32_e32 v2, s18
	s_sub_i32 s20, 0, s18
	v_rcp_iflag_f32_e32 v2, v2
	v_mul_f32_e32 v2, 0x4f7ffffe, v2
	v_cvt_u32_f32_e32 v2, v2
	v_mul_lo_u32 v6, s20, v2
	v_mul_hi_u32 v6, v2, v6
	v_add_u32_e32 v2, v2, v6
	v_mul_hi_u32 v2, v7, v2
	v_mul_lo_u32 v6, v2, s18
	v_add_u32_e32 v9, 1, v2
	v_sub_u32_e32 v6, v7, v6
	v_subrev_u32_e32 v10, s18, v6
	v_cmp_le_u32_e32 vcc, s18, v6
	v_cndmask_b32_e32 v6, v6, v10, vcc
	v_cndmask_b32_e32 v2, v2, v9, vcc
	v_add_u32_e32 v9, 1, v2
	v_cmp_le_u32_e32 vcc, s18, v6
	v_cndmask_b32_e32 v9, v2, v9, vcc
	v_mov_b32_e32 v10, v5
.LBB0_6:                                ;   in Loop: Header=BB0_2 Depth=1
	s_or_b64 exec, exec, s[0:1]
	v_mul_lo_u32 v2, v10, s18
	v_mul_lo_u32 v6, v9, s19
	v_mad_u64_u32 v[11:12], s[0:1], v9, s18, 0
	s_load_dwordx2 s[0:1], s[6:7], 0x0
	s_add_u32 s14, s14, 1
	v_add3_u32 v2, v12, v6, v2
	v_sub_co_u32_e32 v6, vcc, v7, v11
	v_subb_co_u32_e32 v2, vcc, v8, v2, vcc
	s_waitcnt lgkmcnt(0)
	v_mul_lo_u32 v2, s0, v2
	v_mul_lo_u32 v7, s1, v6
	v_mad_u64_u32 v[3:4], s[0:1], s0, v6, v[3:4]
	s_addc_u32 s15, s15, 0
	s_add_u32 s6, s6, 8
	v_add3_u32 v4, v7, v4, v2
	v_mov_b32_e32 v6, s10
	v_mov_b32_e32 v7, s11
	s_addc_u32 s7, s7, 0
	v_cmp_ge_u64_e32 vcc, s[14:15], v[6:7]
	s_add_u32 s16, s16, 8
	s_addc_u32 s17, s17, 0
	s_cbranch_vccnz .LBB0_8
; %bb.7:                                ;   in Loop: Header=BB0_2 Depth=1
	v_mov_b32_e32 v7, v9
	v_mov_b32_e32 v8, v10
	s_branch .LBB0_2
.LBB0_8:
	s_lshl_b64 s[0:1], s[10:11], 3
	s_add_u32 s0, s12, s0
	s_addc_u32 s1, s13, s1
	s_load_dwordx2 s[0:1], s[0:1], 0x0
	s_mov_b32 s6, 0xaaaaaaab
	v_mul_hi_u32 v5, v1, s6
	s_load_dwordx2 s[4:5], s[4:5], 0x20
                                        ; implicit-def: $vgpr42
                                        ; implicit-def: $vgpr45
	s_waitcnt lgkmcnt(0)
	v_mul_lo_u32 v6, s0, v10
	v_mul_lo_u32 v7, s1, v9
	v_mad_u64_u32 v[2:3], s[0:1], s0, v9, v[3:4]
	s_mov_b32 s0, 0x30c30c4
	v_lshrrev_b32_e32 v4, 1, v5
	v_mul_hi_u32 v5, v0, s0
	v_lshl_add_u32 v4, v4, 1, v4
	v_sub_u32_e32 v1, v1, v4
	v_cmp_gt_u64_e64 s[0:1], s[4:5], v[9:10]
	v_cmp_le_u64_e32 vcc, s[4:5], v[9:10]
	v_mul_u32_u24_e32 v4, 0x54, v5
	v_add3_u32 v3, v7, v3, v6
	v_sub_u32_e32 v36, v0, v4
	s_and_saveexec_b64 s[4:5], vcc
	s_xor_b64 s[4:5], exec, s[4:5]
; %bb.9:
	v_add_u32_e32 v42, 0x54, v36
	v_add_u32_e32 v45, 0xa8, v36
; %bb.10:
	s_or_saveexec_b64 s[4:5], s[4:5]
	v_mul_u32_u24_e32 v0, 0x24c, v1
	v_lshlrev_b64 v[38:39], 4, v[2:3]
	v_lshlrev_b32_e32 v41, 4, v0
	v_lshlrev_b32_e32 v1, 4, v36
	s_xor_b64 exec, exec, s[4:5]
	s_cbranch_execz .LBB0_12
; %bb.11:
	v_mov_b32_e32 v37, 0
	v_mov_b32_e32 v0, s3
	v_add_co_u32_e32 v4, vcc, s2, v38
	v_lshlrev_b64 v[2:3], 4, v[36:37]
	v_addc_co_u32_e32 v0, vcc, v0, v39, vcc
	v_add_co_u32_e32 v18, vcc, v4, v2
	v_addc_co_u32_e32 v19, vcc, v0, v3, vcc
	v_add_co_u32_e32 v30, vcc, 0x1000, v18
	v_addc_co_u32_e32 v31, vcc, 0, v19, vcc
	global_load_dwordx4 v[2:5], v[18:19], off
	global_load_dwordx4 v[6:9], v[18:19], off offset:1344
	global_load_dwordx4 v[10:13], v[18:19], off offset:2688
	;; [unrolled: 1-line block ×3, first 2 shown]
	s_nop 0
	global_load_dwordx4 v[18:21], v[30:31], off offset:1280
	global_load_dwordx4 v[22:25], v[30:31], off offset:2624
	;; [unrolled: 1-line block ×3, first 2 shown]
	v_add3_u32 v0, 0, v41, v1
	v_add_u32_e32 v42, 0x54, v36
	v_add_u32_e32 v45, 0xa8, v36
	s_waitcnt vmcnt(6)
	ds_write_b128 v0, v[2:5]
	s_waitcnt vmcnt(5)
	ds_write_b128 v0, v[6:9] offset:1344
	s_waitcnt vmcnt(4)
	ds_write_b128 v0, v[10:13] offset:2688
	;; [unrolled: 2-line block ×6, first 2 shown]
.LBB0_12:
	s_or_b64 exec, exec, s[4:5]
	v_add_u32_e32 v0, 0, v41
	v_add_u32_e32 v40, v0, v1
	s_waitcnt lgkmcnt(0)
	s_barrier
	v_add3_u32 v37, 0, v1, v41
	ds_read_b128 v[1:4], v40
	ds_read_b128 v[5:8], v37 offset:1344
	ds_read_b128 v[9:12], v37 offset:8064
	ds_read_b128 v[13:16], v37 offset:2688
	ds_read_b128 v[17:20], v37 offset:4032
	ds_read_b128 v[21:24], v37 offset:5376
	ds_read_b128 v[25:28], v37 offset:6720
	s_waitcnt lgkmcnt(4)
	v_add_f64 v[29:30], v[5:6], v[9:10]
	v_add_f64 v[31:32], v[7:8], v[11:12]
	v_add_f64 v[5:6], v[5:6], -v[9:10]
	v_add_f64 v[7:8], v[7:8], -v[11:12]
	s_waitcnt lgkmcnt(0)
	v_add_f64 v[9:10], v[13:14], v[25:26]
	v_add_f64 v[11:12], v[15:16], v[27:28]
	v_add_f64 v[13:14], v[13:14], -v[25:26]
	v_add_f64 v[15:16], v[15:16], -v[27:28]
	v_add_f64 v[25:26], v[17:18], v[21:22]
	v_add_f64 v[27:28], v[19:20], v[23:24]
	v_add_f64 v[17:18], v[21:22], -v[17:18]
	v_add_f64 v[19:20], v[23:24], -v[19:20]
	;; [unrolled: 4-line block ×3, first 2 shown]
	v_add_f64 v[29:30], v[29:30], -v[25:26]
	v_add_f64 v[31:32], v[31:32], -v[27:28]
	;; [unrolled: 1-line block ×4, first 2 shown]
	v_add_f64 v[46:47], v[17:18], v[13:14]
	v_add_f64 v[48:49], v[19:20], v[15:16]
	v_add_f64 v[50:51], v[17:18], -v[13:14]
	v_add_f64 v[52:53], v[19:20], -v[15:16]
	v_add_f64 v[21:22], v[25:26], v[21:22]
	v_add_f64 v[23:24], v[27:28], v[23:24]
	v_add_f64 v[13:14], v[13:14], -v[5:6]
	v_add_f64 v[15:16], v[15:16], -v[7:8]
	s_mov_b32 s4, 0x37e14327
	s_mov_b32 s5, 0x3fe948f6
	v_mul_f64 v[25:26], v[29:30], s[4:5]
	v_mul_f64 v[27:28], v[31:32], s[4:5]
	s_mov_b32 s4, 0x36b3c0b5
	s_mov_b32 s5, 0x3fac98ee
	;; [unrolled: 1-line block ×3, first 2 shown]
	v_mul_f64 v[29:30], v[9:10], s[4:5]
	v_mul_f64 v[31:32], v[11:12], s[4:5]
	s_mov_b32 s7, 0x3fe11646
	v_add_f64 v[17:18], v[5:6], -v[17:18]
	v_add_f64 v[19:20], v[7:8], -v[19:20]
	v_add_f64 v[5:6], v[46:47], v[5:6]
	v_add_f64 v[7:8], v[48:49], v[7:8]
	v_mul_f64 v[46:47], v[50:51], s[6:7]
	v_mul_f64 v[48:49], v[52:53], s[6:7]
	s_mov_b32 s6, 0x429ad128
	v_add_f64 v[1:2], v[1:2], v[21:22]
	v_add_f64 v[3:4], v[3:4], v[23:24]
	s_mov_b32 s7, 0xbfebfeb5
	v_mul_f64 v[50:51], v[13:14], s[6:7]
	v_mul_f64 v[52:53], v[15:16], s[6:7]
	v_fma_f64 v[9:10], v[9:10], s[4:5], v[25:26]
	v_fma_f64 v[11:12], v[11:12], s[4:5], v[27:28]
	s_mov_b32 s5, 0x3fe77f67
	s_mov_b32 s4, 0x5476071b
	;; [unrolled: 1-line block ×3, first 2 shown]
	v_fma_f64 v[29:30], v[33:34], s[4:5], -v[29:30]
	v_fma_f64 v[31:32], v[43:44], s[4:5], -v[31:32]
	s_mov_b32 s5, 0xbfe77f67
	s_mov_b32 s11, 0xbff2aaaa
	v_fma_f64 v[25:26], v[33:34], s[4:5], -v[25:26]
	v_fma_f64 v[27:28], v[43:44], s[4:5], -v[27:28]
	s_mov_b32 s5, 0xbfd5d0dc
	s_mov_b32 s4, 0xb247c609
	v_fma_f64 v[21:22], v[21:22], s[10:11], v[1:2]
	v_fma_f64 v[23:24], v[23:24], s[10:11], v[3:4]
	;; [unrolled: 1-line block ×4, first 2 shown]
	s_mov_b32 s5, 0x3fd5d0dc
	v_fma_f64 v[17:18], v[17:18], s[4:5], -v[50:51]
	v_fma_f64 v[19:20], v[19:20], s[4:5], -v[52:53]
	;; [unrolled: 1-line block ×4, first 2 shown]
	s_mov_b32 s4, 0x37c3f68c
	s_mov_b32 s5, 0xbfdc38aa
	v_add_f64 v[9:10], v[9:10], v[21:22]
	v_add_f64 v[46:47], v[11:12], v[23:24]
	v_fma_f64 v[43:44], v[7:8], s[4:5], v[43:44]
	v_fma_f64 v[33:34], v[5:6], s[4:5], v[33:34]
	v_add_f64 v[11:12], v[29:30], v[21:22]
	v_add_f64 v[29:30], v[31:32], v[23:24]
	;; [unrolled: 1-line block ×4, first 2 shown]
	v_fma_f64 v[50:51], v[7:8], s[4:5], v[19:20]
	v_fma_f64 v[52:53], v[5:6], s[4:5], v[17:18]
	;; [unrolled: 1-line block ×4, first 2 shown]
	v_add_f64 v[5:6], v[9:10], v[43:44]
	v_add_f64 v[7:8], v[46:47], -v[33:34]
	s_movk_i32 s4, 0x60
	v_add_f64 v[16:17], v[31:32], v[50:51]
	v_add_f64 v[18:19], v[48:49], -v[52:53]
	v_add_f64 v[20:21], v[11:12], -v[24:25]
	v_add_f64 v[22:23], v[13:14], v[29:30]
	v_add_f64 v[24:25], v[11:12], v[24:25]
	v_add_f64 v[26:27], v[29:30], -v[13:14]
	v_add_f64 v[28:29], v[31:32], -v[50:51]
	v_add_f64 v[30:31], v[52:53], v[48:49]
	v_add_f64 v[12:13], v[9:10], -v[43:44]
	v_add_f64 v[14:15], v[33:34], v[46:47]
	v_mad_u32_u24 v9, v36, s4, v37
	s_barrier
	ds_write_b128 v9, v[1:4]
	ds_write_b128 v9, v[5:8] offset:16
	ds_write_b128 v9, v[16:19] offset:32
	;; [unrolled: 1-line block ×6, first 2 shown]
	s_waitcnt lgkmcnt(0)
	s_barrier
	ds_read_b128 v[4:7], v40
	ds_read_b128 v[28:31], v37 offset:3136
	v_lshl_add_u32 v43, v42, 4, v0
	ds_read_b128 v[32:35], v37 offset:6272
	ds_read_b128 v[24:27], v37 offset:4480
	ds_read_b128 v[0:3], v43
	ds_read_b128 v[20:23], v37 offset:7616
	v_cmp_gt_u32_e32 vcc, 28, v36
	v_lshlrev_b32_e32 v44, 4, v45
                                        ; implicit-def: $vgpr18_vgpr19
                                        ; implicit-def: $vgpr10_vgpr11
	s_and_saveexec_b64 s[4:5], vcc
	s_cbranch_execz .LBB0_14
; %bb.13:
	v_add3_u32 v8, 0, v44, v41
	ds_read_b128 v[12:15], v8
	ds_read_b128 v[8:11], v37 offset:5824
	ds_read_b128 v[16:19], v37 offset:8960
.LBB0_14:
	s_or_b64 exec, exec, s[4:5]
	v_mov_b32_e32 v64, 37
	v_mul_lo_u16_sdwa v46, v36, v64 dst_sel:DWORD dst_unused:UNUSED_PAD src0_sel:BYTE_0 src1_sel:DWORD
	v_sub_u16_sdwa v47, v36, v46 dst_sel:DWORD dst_unused:UNUSED_PAD src0_sel:DWORD src1_sel:BYTE_1
	v_lshrrev_b16_e32 v47, 1, v47
	v_and_b32_e32 v47, 0x7f, v47
	v_add_u16_sdwa v46, v47, v46 dst_sel:DWORD dst_unused:UNUSED_PAD src0_sel:DWORD src1_sel:BYTE_1
	v_lshrrev_b16_e32 v70, 2, v46
	v_mul_lo_u16_e32 v46, 7, v70
	v_sub_u16_e32 v71, v36, v46
	v_mov_b32_e32 v65, 5
	v_lshlrev_b32_sdwa v54, v65, v71 dst_sel:DWORD dst_unused:UNUSED_PAD src0_sel:DWORD src1_sel:BYTE_0
	global_load_dwordx4 v[46:49], v54, s[8:9] offset:16
	global_load_dwordx4 v[50:53], v54, s[8:9]
	s_mov_b32 s6, 0xe8584caa
	s_mov_b32 s7, 0xbfebb67a
	;; [unrolled: 1-line block ×4, first 2 shown]
	s_movk_i32 s10, 0x150
	s_waitcnt vmcnt(0) lgkmcnt(4)
	v_mul_f64 v[54:55], v[30:31], v[52:53]
	v_fma_f64 v[54:55], v[28:29], v[50:51], v[54:55]
	v_mul_f64 v[28:29], v[28:29], v[52:53]
	v_fma_f64 v[50:51], v[30:31], v[50:51], -v[28:29]
	s_waitcnt lgkmcnt(3)
	v_mul_f64 v[28:29], v[34:35], v[48:49]
	v_fma_f64 v[52:53], v[32:33], v[46:47], v[28:29]
	v_mul_f64 v[28:29], v[32:33], v[48:49]
	v_fma_f64 v[47:48], v[34:35], v[46:47], -v[28:29]
	v_mul_lo_u16_sdwa v28, v42, v64 dst_sel:DWORD dst_unused:UNUSED_PAD src0_sel:BYTE_0 src1_sel:DWORD
	v_sub_u16_sdwa v29, v42, v28 dst_sel:DWORD dst_unused:UNUSED_PAD src0_sel:DWORD src1_sel:BYTE_1
	v_lshrrev_b16_e32 v29, 1, v29
	v_and_b32_e32 v29, 0x7f, v29
	v_add_u16_sdwa v28, v29, v28 dst_sel:DWORD dst_unused:UNUSED_PAD src0_sel:DWORD src1_sel:BYTE_1
	v_lshrrev_b16_e32 v72, 2, v28
	v_mul_lo_u16_e32 v28, 7, v72
	v_sub_u16_e32 v73, v42, v28
	v_lshlrev_b32_sdwa v46, v65, v73 dst_sel:DWORD dst_unused:UNUSED_PAD src0_sel:DWORD src1_sel:BYTE_0
	global_load_dwordx4 v[28:31], v46, s[8:9] offset:16
	global_load_dwordx4 v[32:35], v46, s[8:9]
	s_waitcnt vmcnt(0) lgkmcnt(2)
	v_mul_f64 v[56:57], v[26:27], v[34:35]
	v_fma_f64 v[56:57], v[24:25], v[32:33], v[56:57]
	v_mul_f64 v[24:25], v[24:25], v[34:35]
	v_mad_u32_u24 v35, v70, s10, 0
	v_fma_f64 v[58:59], v[26:27], v[32:33], -v[24:25]
	s_waitcnt lgkmcnt(0)
	v_mul_f64 v[24:25], v[22:23], v[30:31]
	v_fma_f64 v[60:61], v[20:21], v[28:29], v[24:25]
	v_mul_f64 v[20:21], v[20:21], v[30:31]
	v_fma_f64 v[62:63], v[22:23], v[28:29], -v[20:21]
	v_mul_lo_u16_sdwa v20, v45, v64 dst_sel:DWORD dst_unused:UNUSED_PAD src0_sel:BYTE_0 src1_sel:DWORD
	v_sub_u16_sdwa v21, v45, v20 dst_sel:DWORD dst_unused:UNUSED_PAD src0_sel:DWORD src1_sel:BYTE_1
	v_lshrrev_b16_e32 v21, 1, v21
	v_and_b32_e32 v21, 0x7f, v21
	v_add_u16_sdwa v20, v21, v20 dst_sel:DWORD dst_unused:UNUSED_PAD src0_sel:DWORD src1_sel:BYTE_1
	v_lshrrev_b16_e32 v24, 2, v20
	v_mul_lo_u16_e32 v20, 7, v24
	v_sub_u16_e32 v25, v45, v20
	v_lshlrev_b32_sdwa v30, v65, v25 dst_sel:DWORD dst_unused:UNUSED_PAD src0_sel:DWORD src1_sel:BYTE_0
	global_load_dwordx4 v[20:23], v30, s[8:9] offset:16
	global_load_dwordx4 v[26:29], v30, s[8:9]
	s_waitcnt vmcnt(0)
	s_barrier
	v_mul_f64 v[30:31], v[10:11], v[28:29]
	v_fma_f64 v[64:65], v[8:9], v[26:27], v[30:31]
	v_mul_f64 v[8:9], v[8:9], v[28:29]
	v_fma_f64 v[66:67], v[10:11], v[26:27], -v[8:9]
	v_mul_f64 v[8:9], v[18:19], v[22:23]
	v_mov_b32_e32 v26, 4
	v_fma_f64 v[68:69], v[16:17], v[20:21], v[8:9]
	v_mul_f64 v[8:9], v[16:17], v[22:23]
	v_add_f64 v[10:11], v[64:65], v[68:69]
	v_fma_f64 v[20:21], v[18:19], v[20:21], -v[8:9]
	v_add_f64 v[8:9], v[4:5], v[54:55]
	v_add_f64 v[22:23], v[64:65], -v[68:69]
	v_fma_f64 v[16:17], v[10:11], -0.5, v[12:13]
	v_add_f64 v[10:11], v[14:15], v[66:67]
	v_add_f64 v[27:28], v[8:9], v[52:53]
	;; [unrolled: 1-line block ×3, first 2 shown]
	v_add_f64 v[18:19], v[66:67], -v[20:21]
	v_add_f64 v[10:11], v[10:11], v[20:21]
	v_add_f64 v[20:21], v[66:67], v[20:21]
	v_fma_f64 v[4:5], v[8:9], -0.5, v[4:5]
	v_add_f64 v[8:9], v[50:51], -v[47:48]
	v_fma_f64 v[20:21], v[20:21], -0.5, v[14:15]
	v_fma_f64 v[31:32], v[8:9], s[6:7], v[4:5]
	v_fma_f64 v[45:46], v[8:9], s[4:5], v[4:5]
	v_add_f64 v[4:5], v[6:7], v[50:51]
	v_add_f64 v[8:9], v[56:57], -v[60:61]
	v_fma_f64 v[14:15], v[22:23], s[4:5], v[20:21]
	v_add_f64 v[29:30], v[4:5], v[47:48]
	v_add_f64 v[4:5], v[50:51], v[47:48]
	v_fma_f64 v[4:5], v[4:5], -0.5, v[6:7]
	v_add_f64 v[6:7], v[54:55], -v[52:53]
	v_lshlrev_b32_sdwa v53, v26, v71 dst_sel:DWORD dst_unused:UNUSED_PAD src0_sel:DWORD src1_sel:BYTE_0
	v_add3_u32 v35, v35, v53, v41
	v_fma_f64 v[33:34], v[6:7], s[4:5], v[4:5]
	v_fma_f64 v[47:48], v[6:7], s[6:7], v[4:5]
	v_add_f64 v[4:5], v[0:1], v[56:57]
	v_add_f64 v[6:7], v[58:59], -v[62:63]
	ds_write_b128 v35, v[27:30]
	ds_write_b128 v35, v[31:34] offset:112
	ds_write_b128 v35, v[45:48] offset:224
	v_mad_u32_u24 v27, v72, s10, 0
	v_lshlrev_b32_sdwa v28, v26, v73 dst_sel:DWORD dst_unused:UNUSED_PAD src0_sel:DWORD src1_sel:BYTE_0
	v_add_f64 v[49:50], v[4:5], v[60:61]
	v_add_f64 v[4:5], v[56:57], v[60:61]
	v_add3_u32 v27, v27, v28, v41
	v_fma_f64 v[4:5], v[4:5], -0.5, v[0:1]
	v_fma_f64 v[0:1], v[6:7], s[6:7], v[4:5]
	v_fma_f64 v[4:5], v[6:7], s[4:5], v[4:5]
	v_add_f64 v[6:7], v[2:3], v[58:59]
	v_add_f64 v[51:52], v[6:7], v[62:63]
	;; [unrolled: 1-line block ×3, first 2 shown]
	v_fma_f64 v[6:7], v[6:7], -0.5, v[2:3]
	v_fma_f64 v[2:3], v[8:9], s[4:5], v[6:7]
	v_fma_f64 v[6:7], v[8:9], s[6:7], v[6:7]
	v_add_f64 v[8:9], v[12:13], v[64:65]
	v_fma_f64 v[12:13], v[18:19], s[6:7], v[16:17]
	ds_write_b128 v27, v[49:52]
	ds_write_b128 v27, v[0:3] offset:112
	ds_write_b128 v27, v[4:7] offset:224
	v_add_f64 v[8:9], v[8:9], v[68:69]
	s_and_saveexec_b64 s[6:7], vcc
	s_cbranch_execz .LBB0_16
; %bb.15:
	v_mul_f64 v[22:23], v[22:23], s[4:5]
	v_mul_f64 v[27:28], v[18:19], s[4:5]
	v_add_f64 v[18:19], v[20:21], -v[22:23]
	v_add_f64 v[16:17], v[27:28], v[16:17]
	v_mad_u32_u24 v20, v24, s10, 0
	v_lshlrev_b32_sdwa v21, v26, v25 dst_sel:DWORD dst_unused:UNUSED_PAD src0_sel:DWORD src1_sel:BYTE_0
	v_add3_u32 v20, v20, v21, v41
	ds_write_b128 v20, v[8:11]
	ds_write_b128 v20, v[12:15] offset:112
	ds_write_b128 v20, v[16:19] offset:224
.LBB0_16:
	s_or_b64 exec, exec, s[6:7]
	s_waitcnt lgkmcnt(0)
	s_barrier
	ds_read_b128 v[16:19], v40
	ds_read_b128 v[28:31], v37 offset:2352
	ds_read_b128 v[24:27], v37 offset:4704
	;; [unrolled: 1-line block ×3, first 2 shown]
	v_cmp_gt_u32_e32 vcc, 63, v36
	s_and_saveexec_b64 s[4:5], vcc
	s_cbranch_execz .LBB0_18
; %bb.17:
	ds_read_b128 v[4:7], v37 offset:3696
	ds_read_b128 v[8:11], v37 offset:6048
	ds_read_b128 v[0:3], v43
	ds_read_b128 v[12:15], v37 offset:8400
.LBB0_18:
	s_or_b64 exec, exec, s[4:5]
	s_movk_i32 s7, 0x87
	v_mul_lo_u16_sdwa v32, v36, s7 dst_sel:DWORD dst_unused:UNUSED_PAD src0_sel:BYTE_0 src1_sel:DWORD
	v_sub_u16_sdwa v33, v36, v32 dst_sel:DWORD dst_unused:UNUSED_PAD src0_sel:DWORD src1_sel:BYTE_1
	v_lshrrev_b16_e32 v33, 1, v33
	v_and_b32_e32 v33, 0x7f, v33
	v_add_u16_sdwa v32, v33, v32 dst_sel:DWORD dst_unused:UNUSED_PAD src0_sel:DWORD src1_sel:BYTE_1
	v_lshrrev_b16_e32 v32, 4, v32
	v_and_b32_e32 v35, 15, v32
	v_mul_lo_u16_e32 v32, 21, v35
	v_sub_u16_e32 v61, v36, v32
	v_mov_b32_e32 v32, 3
	v_mul_u32_u24_sdwa v33, v61, v32 dst_sel:DWORD dst_unused:UNUSED_PAD src0_sel:BYTE_0 src1_sel:DWORD
	v_lshlrev_b32_e32 v33, 4, v33
	global_load_dwordx4 v[45:48], v33, s[8:9] offset:224
	global_load_dwordx4 v[49:52], v33, s[8:9] offset:240
	;; [unrolled: 1-line block ×3, first 2 shown]
	s_movk_i32 s6, 0x540
	s_waitcnt vmcnt(0) lgkmcnt(0)
	s_barrier
	v_mul_f64 v[33:34], v[30:31], v[47:48]
	v_mul_f64 v[47:48], v[28:29], v[47:48]
	;; [unrolled: 1-line block ×6, first 2 shown]
	v_fma_f64 v[28:29], v[28:29], v[45:46], v[33:34]
	v_fma_f64 v[30:31], v[30:31], v[45:46], -v[47:48]
	v_fma_f64 v[24:25], v[24:25], v[49:50], v[57:58]
	v_fma_f64 v[26:27], v[26:27], v[49:50], -v[51:52]
	;; [unrolled: 2-line block ×3, first 2 shown]
	v_add_f64 v[33:34], v[16:17], -v[24:25]
	v_add_f64 v[45:46], v[18:19], -v[26:27]
	;; [unrolled: 1-line block ×4, first 2 shown]
	v_fma_f64 v[47:48], v[16:17], 2.0, -v[33:34]
	v_fma_f64 v[49:50], v[18:19], 2.0, -v[45:46]
	;; [unrolled: 1-line block ×4, first 2 shown]
	v_add_f64 v[17:18], v[33:34], v[22:23]
	v_add_f64 v[19:20], v[45:46], -v[20:21]
	v_mov_b32_e32 v16, 4
	v_lshlrev_b32_sdwa v30, v16, v61 dst_sel:DWORD dst_unused:UNUSED_PAD src0_sel:DWORD src1_sel:BYTE_0
	v_add_f64 v[21:22], v[47:48], -v[24:25]
	v_add_f64 v[23:24], v[49:50], -v[26:27]
	v_and_b32_e32 v25, 0xffff, v35
	v_mad_u32_u24 v29, v25, s6, 0
	v_fma_f64 v[25:26], v[33:34], 2.0, -v[17:18]
	v_fma_f64 v[27:28], v[45:46], 2.0, -v[19:20]
	v_add3_u32 v29, v29, v30, v41
	v_fma_f64 v[45:46], v[47:48], 2.0, -v[21:22]
	v_fma_f64 v[47:48], v[49:50], 2.0, -v[23:24]
	ds_write_b128 v29, v[25:28] offset:336
	ds_write_b128 v29, v[21:24] offset:672
	ds_write_b128 v29, v[45:48]
	ds_write_b128 v29, v[17:20] offset:1008
	s_and_saveexec_b64 s[4:5], vcc
	s_cbranch_execz .LBB0_20
; %bb.19:
	v_mul_lo_u16_sdwa v17, v42, s7 dst_sel:DWORD dst_unused:UNUSED_PAD src0_sel:BYTE_0 src1_sel:DWORD
	v_sub_u16_sdwa v18, v42, v17 dst_sel:DWORD dst_unused:UNUSED_PAD src0_sel:DWORD src1_sel:BYTE_1
	v_lshrrev_b16_e32 v18, 1, v18
	v_and_b32_e32 v18, 0x7f, v18
	v_add_u16_sdwa v17, v18, v17 dst_sel:DWORD dst_unused:UNUSED_PAD src0_sel:DWORD src1_sel:BYTE_1
	v_lshrrev_b16_e32 v17, 4, v17
	v_and_b32_e32 v35, 15, v17
	v_mul_lo_u16_e32 v17, 21, v35
	v_sub_u16_e32 v42, v42, v17
	v_mul_u32_u24_sdwa v17, v42, v32 dst_sel:DWORD dst_unused:UNUSED_PAD src0_sel:BYTE_0 src1_sel:DWORD
	v_lshlrev_b32_e32 v29, 4, v17
	global_load_dwordx4 v[17:20], v29, s[8:9] offset:240
	global_load_dwordx4 v[21:24], v29, s[8:9] offset:224
	;; [unrolled: 1-line block ×3, first 2 shown]
	v_lshlrev_b32_sdwa v16, v16, v42 dst_sel:DWORD dst_unused:UNUSED_PAD src0_sel:DWORD src1_sel:BYTE_0
	s_waitcnt vmcnt(2)
	v_mul_f64 v[29:30], v[8:9], v[19:20]
	s_waitcnt vmcnt(1)
	v_mul_f64 v[31:32], v[6:7], v[23:24]
	v_mul_f64 v[23:24], v[4:5], v[23:24]
	s_waitcnt vmcnt(0)
	v_mul_f64 v[33:34], v[12:13], v[27:28]
	v_mul_f64 v[19:20], v[10:11], v[19:20]
	;; [unrolled: 1-line block ×3, first 2 shown]
	v_fma_f64 v[10:11], v[10:11], v[17:18], -v[29:30]
	v_fma_f64 v[4:5], v[4:5], v[21:22], v[31:32]
	v_fma_f64 v[6:7], v[6:7], v[21:22], -v[23:24]
	v_fma_f64 v[14:15], v[14:15], v[25:26], -v[33:34]
	v_fma_f64 v[8:9], v[8:9], v[17:18], v[19:20]
	v_fma_f64 v[12:13], v[12:13], v[25:26], v[27:28]
	v_add_f64 v[10:11], v[2:3], -v[10:11]
	v_add_f64 v[14:15], v[6:7], -v[14:15]
	;; [unrolled: 1-line block ×4, first 2 shown]
	v_fma_f64 v[17:18], v[2:3], 2.0, -v[10:11]
	v_fma_f64 v[6:7], v[6:7], 2.0, -v[14:15]
	v_fma_f64 v[19:20], v[0:1], 2.0, -v[8:9]
	v_fma_f64 v[4:5], v[4:5], 2.0, -v[12:13]
	v_add_f64 v[2:3], v[10:11], -v[12:13]
	v_add_f64 v[0:1], v[8:9], v[14:15]
	v_add_f64 v[6:7], v[17:18], -v[6:7]
	v_add_f64 v[4:5], v[19:20], -v[4:5]
	v_fma_f64 v[10:11], v[10:11], 2.0, -v[2:3]
	v_fma_f64 v[8:9], v[8:9], 2.0, -v[0:1]
	;; [unrolled: 1-line block ×3, first 2 shown]
	v_and_b32_e32 v17, 0xffff, v35
	v_fma_f64 v[12:13], v[19:20], 2.0, -v[4:5]
	v_mad_u32_u24 v17, v17, s6, 0
	v_add3_u32 v16, v17, v16, v41
	ds_write_b128 v16, v[8:11] offset:336
	ds_write_b128 v16, v[4:7] offset:672
	ds_write_b128 v16, v[12:15]
	ds_write_b128 v16, v[0:3] offset:1008
.LBB0_20:
	s_or_b64 exec, exec, s[4:5]
	v_mul_u32_u24_e32 v0, 6, v36
	v_lshlrev_b32_e32 v24, 4, v0
	s_waitcnt lgkmcnt(0)
	s_barrier
	global_load_dwordx4 v[0:3], v24, s[8:9] offset:1232
	global_load_dwordx4 v[4:7], v24, s[8:9] offset:1248
	;; [unrolled: 1-line block ×6, first 2 shown]
	v_add3_u32 v56, 0, v44, v41
	ds_read_b128 v[24:27], v40
	ds_read_b128 v[28:31], v37 offset:4032
	ds_read_b128 v[32:35], v37 offset:5376
	;; [unrolled: 1-line block ×3, first 2 shown]
	ds_read_b128 v[48:51], v43
	ds_read_b128 v[52:55], v37 offset:8064
	ds_read_b128 v[56:59], v56
	s_mov_b32 s6, 0x37e14327
	s_mov_b32 s4, 0x36b3c0b5
	;; [unrolled: 1-line block ×16, first 2 shown]
	s_waitcnt vmcnt(0) lgkmcnt(0)
	s_barrier
	v_mul_f64 v[41:42], v[50:51], v[2:3]
	v_mul_f64 v[2:3], v[48:49], v[2:3]
	v_fma_f64 v[41:42], v[48:49], v[0:1], v[41:42]
	v_fma_f64 v[0:1], v[50:51], v[0:1], -v[2:3]
	v_mul_f64 v[2:3], v[58:59], v[6:7]
	v_mul_f64 v[6:7], v[56:57], v[6:7]
	v_mul_f64 v[48:49], v[54:55], v[10:11]
	v_mul_f64 v[10:11], v[52:53], v[10:11]
	v_mul_f64 v[50:51], v[46:47], v[18:19]
	v_mul_f64 v[18:19], v[44:45], v[18:19]
	v_fma_f64 v[2:3], v[56:57], v[4:5], v[2:3]
	v_fma_f64 v[4:5], v[58:59], v[4:5], -v[6:7]
	v_mul_f64 v[6:7], v[30:31], v[14:15]
	v_mul_f64 v[14:15], v[28:29], v[14:15]
	v_fma_f64 v[48:49], v[52:53], v[8:9], v[48:49]
	v_fma_f64 v[8:9], v[54:55], v[8:9], -v[10:11]
	v_mul_f64 v[10:11], v[34:35], v[22:23]
	v_mul_f64 v[22:23], v[32:33], v[22:23]
	v_fma_f64 v[6:7], v[28:29], v[12:13], v[6:7]
	v_fma_f64 v[12:13], v[30:31], v[12:13], -v[14:15]
	v_fma_f64 v[14:15], v[44:45], v[16:17], v[50:51]
	v_fma_f64 v[16:17], v[46:47], v[16:17], -v[18:19]
	v_fma_f64 v[10:11], v[32:33], v[20:21], v[10:11]
	v_fma_f64 v[18:19], v[34:35], v[20:21], -v[22:23]
	v_add_f64 v[20:21], v[41:42], v[48:49]
	v_add_f64 v[22:23], v[0:1], v[8:9]
	v_add_f64 v[0:1], v[0:1], -v[8:9]
	v_add_f64 v[28:29], v[41:42], -v[48:49]
	v_add_f64 v[8:9], v[2:3], v[14:15]
	v_add_f64 v[30:31], v[4:5], v[16:17]
	v_add_f64 v[2:3], v[2:3], -v[14:15]
	v_add_f64 v[4:5], v[4:5], -v[16:17]
	;; [unrolled: 4-line block ×4, first 2 shown]
	v_add_f64 v[20:21], v[20:21], -v[14:15]
	v_add_f64 v[22:23], v[22:23], -v[16:17]
	;; [unrolled: 1-line block ×4, first 2 shown]
	v_add_f64 v[41:42], v[6:7], v[2:3]
	v_add_f64 v[43:44], v[10:11], v[4:5]
	v_add_f64 v[45:46], v[6:7], -v[2:3]
	v_add_f64 v[47:48], v[10:11], -v[4:5]
	v_add_f64 v[12:13], v[14:15], v[12:13]
	v_add_f64 v[14:15], v[16:17], v[18:19]
	v_add_f64 v[49:50], v[2:3], -v[28:29]
	v_add_f64 v[4:5], v[4:5], -v[0:1]
	;; [unrolled: 1-line block ×4, first 2 shown]
	v_add_f64 v[16:17], v[41:42], v[28:29]
	v_add_f64 v[18:19], v[43:44], v[0:1]
	v_mul_f64 v[20:21], v[20:21], s[6:7]
	v_mul_f64 v[22:23], v[22:23], s[6:7]
	;; [unrolled: 1-line block ×6, first 2 shown]
	v_add_f64 v[0:1], v[24:25], v[12:13]
	v_add_f64 v[2:3], v[26:27], v[14:15]
	v_mul_f64 v[47:48], v[49:50], s[8:9]
	v_mul_f64 v[51:52], v[4:5], s[8:9]
	v_fma_f64 v[8:9], v[8:9], s[4:5], v[20:21]
	v_fma_f64 v[24:25], v[30:31], s[4:5], v[22:23]
	v_fma_f64 v[26:27], v[32:33], s[14:15], -v[28:29]
	v_fma_f64 v[28:29], v[34:35], s[14:15], -v[41:42]
	s_mov_b32 s15, 0xbfe77f67
	v_fma_f64 v[30:31], v[6:7], s[16:17], v[43:44]
	v_fma_f64 v[41:42], v[10:11], s[16:17], v[45:46]
	s_mov_b32 s17, 0x3fd5d0dc
	v_fma_f64 v[12:13], v[12:13], s[10:11], v[0:1]
	v_fma_f64 v[14:15], v[14:15], s[10:11], v[2:3]
	v_fma_f64 v[43:44], v[49:50], s[8:9], -v[43:44]
	v_fma_f64 v[20:21], v[32:33], s[14:15], -v[20:21]
	;; [unrolled: 1-line block ×6, first 2 shown]
	v_fma_f64 v[30:31], v[16:17], s[18:19], v[30:31]
	v_fma_f64 v[32:33], v[18:19], s[18:19], v[41:42]
	v_add_f64 v[47:48], v[8:9], v[12:13]
	v_add_f64 v[49:50], v[24:25], v[14:15]
	v_fma_f64 v[34:35], v[16:17], s[18:19], v[43:44]
	v_fma_f64 v[43:44], v[16:17], s[18:19], v[6:7]
	;; [unrolled: 1-line block ×3, first 2 shown]
	v_add_f64 v[20:21], v[20:21], v[12:13]
	v_add_f64 v[22:23], v[22:23], v[14:15]
	v_fma_f64 v[41:42], v[18:19], s[18:19], v[4:5]
	v_add_f64 v[16:17], v[26:27], v[12:13]
	v_add_f64 v[18:19], v[28:29], v[14:15]
	;; [unrolled: 1-line block ×3, first 2 shown]
	v_add_f64 v[6:7], v[49:50], -v[30:31]
	v_add_f64 v[24:25], v[47:48], -v[32:33]
	v_add_f64 v[8:9], v[45:46], v[20:21]
	v_add_f64 v[10:11], v[22:23], -v[43:44]
	v_add_f64 v[20:21], v[20:21], -v[45:46]
	;; [unrolled: 1-line block ×3, first 2 shown]
	v_add_f64 v[14:15], v[34:35], v[18:19]
	v_add_f64 v[16:17], v[41:42], v[16:17]
	v_add_f64 v[18:19], v[18:19], -v[34:35]
	v_add_f64 v[22:23], v[43:44], v[22:23]
	v_add_f64 v[26:27], v[30:31], v[49:50]
	ds_write_b128 v37, v[0:3]
	ds_write_b128 v37, v[4:7] offset:1344
	ds_write_b128 v37, v[8:11] offset:2688
	;; [unrolled: 1-line block ×6, first 2 shown]
	s_waitcnt lgkmcnt(0)
	s_barrier
	s_and_saveexec_b64 s[4:5], s[0:1]
	s_cbranch_execz .LBB0_22
; %bb.21:
	v_mov_b32_e32 v0, s3
	v_add_co_u32_e32 v18, vcc, s2, v38
	v_mov_b32_e32 v37, 0
	v_addc_co_u32_e32 v19, vcc, v0, v39, vcc
	ds_read_b128 v[0:3], v40
	ds_read_b128 v[4:7], v40 offset:1344
	ds_read_b128 v[8:11], v40 offset:2688
	;; [unrolled: 1-line block ×3, first 2 shown]
	v_lshlrev_b64 v[16:17], 4, v[36:37]
	v_add_co_u32_e32 v16, vcc, v18, v16
	v_addc_co_u32_e32 v17, vcc, v19, v17, vcc
	s_waitcnt lgkmcnt(3)
	global_store_dwordx4 v[16:17], v[0:3], off
	s_waitcnt lgkmcnt(2)
	global_store_dwordx4 v[16:17], v[4:7], off offset:1344
	s_waitcnt lgkmcnt(1)
	global_store_dwordx4 v[16:17], v[8:11], off offset:2688
	;; [unrolled: 2-line block ×3, first 2 shown]
	ds_read_b128 v[0:3], v40 offset:5376
	ds_read_b128 v[4:7], v40 offset:6720
	;; [unrolled: 1-line block ×3, first 2 shown]
	v_add_co_u32_e32 v12, vcc, 0x1000, v16
	v_addc_co_u32_e32 v13, vcc, 0, v17, vcc
	s_waitcnt lgkmcnt(2)
	global_store_dwordx4 v[12:13], v[0:3], off offset:1280
	s_waitcnt lgkmcnt(1)
	global_store_dwordx4 v[12:13], v[4:7], off offset:2624
	;; [unrolled: 2-line block ×3, first 2 shown]
.LBB0_22:
	s_endpgm
	.section	.rodata,"a",@progbits
	.p2align	6, 0x0
	.amdhsa_kernel fft_rtc_back_len588_factors_7_3_4_7_wgs_252_tpt_84_dp_ip_CI_unitstride_sbrr_dirReg
		.amdhsa_group_segment_fixed_size 0
		.amdhsa_private_segment_fixed_size 0
		.amdhsa_kernarg_size 88
		.amdhsa_user_sgpr_count 6
		.amdhsa_user_sgpr_private_segment_buffer 1
		.amdhsa_user_sgpr_dispatch_ptr 0
		.amdhsa_user_sgpr_queue_ptr 0
		.amdhsa_user_sgpr_kernarg_segment_ptr 1
		.amdhsa_user_sgpr_dispatch_id 0
		.amdhsa_user_sgpr_flat_scratch_init 0
		.amdhsa_user_sgpr_private_segment_size 0
		.amdhsa_uses_dynamic_stack 0
		.amdhsa_system_sgpr_private_segment_wavefront_offset 0
		.amdhsa_system_sgpr_workgroup_id_x 1
		.amdhsa_system_sgpr_workgroup_id_y 0
		.amdhsa_system_sgpr_workgroup_id_z 0
		.amdhsa_system_sgpr_workgroup_info 0
		.amdhsa_system_vgpr_workitem_id 0
		.amdhsa_next_free_vgpr 74
		.amdhsa_next_free_sgpr 22
		.amdhsa_reserve_vcc 1
		.amdhsa_reserve_flat_scratch 0
		.amdhsa_float_round_mode_32 0
		.amdhsa_float_round_mode_16_64 0
		.amdhsa_float_denorm_mode_32 3
		.amdhsa_float_denorm_mode_16_64 3
		.amdhsa_dx10_clamp 1
		.amdhsa_ieee_mode 1
		.amdhsa_fp16_overflow 0
		.amdhsa_exception_fp_ieee_invalid_op 0
		.amdhsa_exception_fp_denorm_src 0
		.amdhsa_exception_fp_ieee_div_zero 0
		.amdhsa_exception_fp_ieee_overflow 0
		.amdhsa_exception_fp_ieee_underflow 0
		.amdhsa_exception_fp_ieee_inexact 0
		.amdhsa_exception_int_div_zero 0
	.end_amdhsa_kernel
	.text
.Lfunc_end0:
	.size	fft_rtc_back_len588_factors_7_3_4_7_wgs_252_tpt_84_dp_ip_CI_unitstride_sbrr_dirReg, .Lfunc_end0-fft_rtc_back_len588_factors_7_3_4_7_wgs_252_tpt_84_dp_ip_CI_unitstride_sbrr_dirReg
                                        ; -- End function
	.section	.AMDGPU.csdata,"",@progbits
; Kernel info:
; codeLenInByte = 5740
; NumSgprs: 26
; NumVgprs: 74
; ScratchSize: 0
; MemoryBound: 0
; FloatMode: 240
; IeeeMode: 1
; LDSByteSize: 0 bytes/workgroup (compile time only)
; SGPRBlocks: 3
; VGPRBlocks: 18
; NumSGPRsForWavesPerEU: 26
; NumVGPRsForWavesPerEU: 74
; Occupancy: 3
; WaveLimiterHint : 1
; COMPUTE_PGM_RSRC2:SCRATCH_EN: 0
; COMPUTE_PGM_RSRC2:USER_SGPR: 6
; COMPUTE_PGM_RSRC2:TRAP_HANDLER: 0
; COMPUTE_PGM_RSRC2:TGID_X_EN: 1
; COMPUTE_PGM_RSRC2:TGID_Y_EN: 0
; COMPUTE_PGM_RSRC2:TGID_Z_EN: 0
; COMPUTE_PGM_RSRC2:TIDIG_COMP_CNT: 0
	.type	__hip_cuid_72252fbda5cda77c,@object ; @__hip_cuid_72252fbda5cda77c
	.section	.bss,"aw",@nobits
	.globl	__hip_cuid_72252fbda5cda77c
__hip_cuid_72252fbda5cda77c:
	.byte	0                               ; 0x0
	.size	__hip_cuid_72252fbda5cda77c, 1

	.ident	"AMD clang version 19.0.0git (https://github.com/RadeonOpenCompute/llvm-project roc-6.4.0 25133 c7fe45cf4b819c5991fe208aaa96edf142730f1d)"
	.section	".note.GNU-stack","",@progbits
	.addrsig
	.addrsig_sym __hip_cuid_72252fbda5cda77c
	.amdgpu_metadata
---
amdhsa.kernels:
  - .args:
      - .actual_access:  read_only
        .address_space:  global
        .offset:         0
        .size:           8
        .value_kind:     global_buffer
      - .offset:         8
        .size:           8
        .value_kind:     by_value
      - .actual_access:  read_only
        .address_space:  global
        .offset:         16
        .size:           8
        .value_kind:     global_buffer
      - .actual_access:  read_only
        .address_space:  global
        .offset:         24
        .size:           8
        .value_kind:     global_buffer
      - .offset:         32
        .size:           8
        .value_kind:     by_value
      - .actual_access:  read_only
        .address_space:  global
        .offset:         40
        .size:           8
        .value_kind:     global_buffer
      - .actual_access:  read_only
        .address_space:  global
        .offset:         48
        .size:           8
        .value_kind:     global_buffer
      - .offset:         56
        .size:           4
        .value_kind:     by_value
      - .actual_access:  read_only
        .address_space:  global
        .offset:         64
        .size:           8
        .value_kind:     global_buffer
      - .actual_access:  read_only
        .address_space:  global
        .offset:         72
        .size:           8
        .value_kind:     global_buffer
      - .address_space:  global
        .offset:         80
        .size:           8
        .value_kind:     global_buffer
    .group_segment_fixed_size: 0
    .kernarg_segment_align: 8
    .kernarg_segment_size: 88
    .language:       OpenCL C
    .language_version:
      - 2
      - 0
    .max_flat_workgroup_size: 252
    .name:           fft_rtc_back_len588_factors_7_3_4_7_wgs_252_tpt_84_dp_ip_CI_unitstride_sbrr_dirReg
    .private_segment_fixed_size: 0
    .sgpr_count:     26
    .sgpr_spill_count: 0
    .symbol:         fft_rtc_back_len588_factors_7_3_4_7_wgs_252_tpt_84_dp_ip_CI_unitstride_sbrr_dirReg.kd
    .uniform_work_group_size: 1
    .uses_dynamic_stack: false
    .vgpr_count:     74
    .vgpr_spill_count: 0
    .wavefront_size: 64
amdhsa.target:   amdgcn-amd-amdhsa--gfx906
amdhsa.version:
  - 1
  - 2
...

	.end_amdgpu_metadata
